;; amdgpu-corpus repo=linkedin/Liger-Kernel kind=triton arch=gfx950 opt=O3 lang=triton
	.amdgcn_target "amdgcn-amd-amdhsa--gfx950"
	.amdhsa_code_object_version 5
	.text
	.globl	_tv_distance_kernel             ; -- Begin function _tv_distance_kernel
	.p2align	8
	.type	_tv_distance_kernel,@function
_tv_distance_kernel:                    ; @_tv_distance_kernel
.Lfunc_begin0:
	.cfi_sections .debug_frame
	.cfi_startproc
; %bb.61:
	.file	1 "/root/src/amdgpu-assembly/repos/linkedin__Liger-Kernel/triton_aot_kernels" "tvd_aot.py"
	.loc	1 12 0 prologue_end             ; tvd_aot.py:12:0
	s_load_dwordx2 s[2:3], s[0:1], 0x0
	s_load_dwordx8 s[4:11], s[0:1], 0x8
	s_load_dwordx4 s[12:15], s[0:1], 0x28
	s_waitcnt lgkmcnt(0)
	s_branch .LBB0_0
	.loc	1 0 0 is_stmt 0                 ; :0:0
.Ltmp0:
	.p2align	8
; %bb.62:
.LBB0_0:
	s_load_dwordx2 s[26:27], s[0:1], 0x48
.Ltmp1:
	.loc	1 72 27 is_stmt 1               ; tvd_aot.py:72:27
	v_readfirstlane_b32 s13, v0
	.loc	1 36 32                         ; tvd_aot.py:36:32
	v_and_b32_e32 v4, 63, v0
	.loc	1 50 30                         ; tvd_aot.py:50:30
	s_waitcnt lgkmcnt(0)
	s_cmp_lt_i32 s26, 1
	s_cbranch_scc1 .LBB0_57
; %bb.1:                                ; %.lr.ph
	.loc	1 0 30 is_stmt 0                ; tvd_aot.py:0:30
	s_load_dword s5, s[0:1], 0x38
	.loc	1 30 19 is_stmt 1               ; tvd_aot.py:30:19
	s_mul_hi_i32 s1, s4, s16
	s_mul_i32 s0, s4, s16
	.loc	1 30 13 is_stmt 0               ; tvd_aot.py:30:13
	s_lshl_b64 s[0:1], s[0:1], 2
	s_add_u32 s28, s2, s0
	s_addc_u32 s29, s3, s1
	.loc	1 31 19 is_stmt 1               ; tvd_aot.py:31:19
	s_mul_hi_i32 s1, s8, s16
	s_mul_i32 s0, s8, s16
	.loc	1 31 13 is_stmt 0               ; tvd_aot.py:31:13
	s_lshl_b64 s[0:1], s[0:1], 2
	s_add_u32 s30, s6, s0
	s_addc_u32 s31, s7, s1
	.loc	1 33 23 is_stmt 1               ; tvd_aot.py:33:23
	s_waitcnt lgkmcnt(0)
	s_mul_hi_i32 s1, s5, s16
	s_mul_i32 s0, s5, s16
	.loc	1 33 17 is_stmt 0               ; tvd_aot.py:33:17
	s_lshl_b64 s[0:1], s[0:1], 2
	s_add_u32 s34, s14, s0
	s_addc_u32 s35, s15, s1
	s_lshr_b32 s2, s13, 4
	s_and_b32 s2, s2, 28
	s_add_i32 s33, s2, 0
	v_cmp_gt_u32_e64 s[2:3], 8, v0
	v_lshl_add_u32 v8, v0, 2, 0
	v_and_b32_e32 v0, 7, v0
	.loc	1 36 32 is_stmt 1               ; tvd_aot.py:36:32
	s_and_b32 s4, s13, 0x1c0
	v_cmp_eq_u32_e32 vcc, 0, v0
	.loc	1 61 41                         ; tvd_aot.py:61:41
	v_mul_f32_e64 v6, s27, 0.5
	.loc	1 61 55 is_stmt 0               ; tvd_aot.py:61:55
	v_mul_f32_e64 v7, s27, -0.5
	s_mov_b32 s17, 0
	v_cmp_eq_u32_e64 s[0:1], 0, v4
	s_and_b64 s[36:37], s[2:3], vcc
	.loc	1 50 30 is_stmt 1               ; tvd_aot.py:50:30
	v_or_b32_e32 v9, s4, v4
	v_mov_b32_e32 v10, 0
	v_mov_b32_e32 v5, 0
	s_branch .LBB0_3
.LBB0_2:                                ;   in Loop: Header=BB0_3 Depth=1
	.loc	1 0 30 is_stmt 0                ; tvd_aot.py:0:30
	s_or_b64 exec, exec, s[4:5]
.Ltmp2:
	.file	2 "/root/.local/lib/python3.13/site-packages/triton/language" "standard.py"
	.loc	2 293 36 is_stmt 1              ; standard.py:293:36 @[ tvd_aot.py:68:31 ]
	s_waitcnt lgkmcnt(0)
	s_barrier
	ds_read_b32 v0, v10
.Ltmp3:
	.loc	1 50 30                         ; tvd_aot.py:50:30
	s_addk_i32 s17, 0x1000
	s_cmp_lt_i32 s17, s26
	.loc	1 68 24                         ; tvd_aot.py:68:24
	s_waitcnt lgkmcnt(0)
	v_add_f32_e32 v5, v5, v0
	.loc	1 50 30                         ; tvd_aot.py:50:30
	s_cbranch_scc0 .LBB0_58
.LBB0_3:                                ; =>This Inner Loop Header: Depth=1
	.loc	1 51 22                         ; tvd_aot.py:51:22
	v_add_u32_e32 v0, s17, v9
	.loc	1 54 28                         ; tvd_aot.py:54:28
	v_ashrrev_i32_e32 v1, 31, v0
	.loc	1 54 20 is_stmt 0               ; tvd_aot.py:54:20
	v_mov_b32_e32 v11, 0
	.loc	1 52 25 is_stmt 1               ; tvd_aot.py:52:25
	v_cmp_gt_i32_e64 s[4:5], s26, v0
	.loc	1 54 28                         ; tvd_aot.py:54:28
	v_lshl_add_u64 v[2:3], v[0:1], 2, s[28:29]
	v_mov_b32_e32 v12, v11
	.loc	1 54 20 is_stmt 0               ; tvd_aot.py:54:20
	s_and_saveexec_b64 s[6:7], s[4:5]
	s_cbranch_execz .LBB0_5
; %bb.4:                                ;   in Loop: Header=BB0_3 Depth=1
	global_load_dword v12, v[2:3], off
.LBB0_5:                                ;   in Loop: Header=BB0_3 Depth=1
	.loc	1 0 20                          ; tvd_aot.py:0:20
	s_or_b64 exec, exec, s[6:7]
	.loc	1 51 22 is_stmt 1               ; tvd_aot.py:51:22
	v_add_u32_e32 v13, 0x200, v0
	.loc	1 52 25                         ; tvd_aot.py:52:25
	v_cmp_gt_i32_e64 s[6:7], s26, v13
	.loc	1 54 20                         ; tvd_aot.py:54:20
	s_and_saveexec_b64 s[8:9], s[6:7]
	s_cbranch_execz .LBB0_7
; %bb.6:                                ;   in Loop: Header=BB0_3 Depth=1
	global_load_dword v11, v[2:3], off offset:2048
.LBB0_7:                                ;   in Loop: Header=BB0_3 Depth=1
	.loc	1 0 20 is_stmt 0                ; tvd_aot.py:0:20
	s_or_b64 exec, exec, s[8:9]
	.loc	1 51 22 is_stmt 1               ; tvd_aot.py:51:22
	v_add_u32_e32 v13, 0x400, v0
	.loc	1 52 25                         ; tvd_aot.py:52:25
	v_cmp_gt_i32_e64 s[8:9], s26, v13
	.loc	1 54 20                         ; tvd_aot.py:54:20
	v_mov_b32_e32 v13, 0
	v_mov_b32_e32 v14, v13
	s_and_saveexec_b64 s[14:15], s[8:9]
	s_cbranch_execz .LBB0_9
; %bb.8:                                ;   in Loop: Header=BB0_3 Depth=1
	v_add_co_u32_e32 v14, vcc, 0x1000, v2
	s_nop 1
	v_addc_co_u32_e32 v15, vcc, 0, v3, vcc
	global_load_dword v14, v[14:15], off
.LBB0_9:                                ;   in Loop: Header=BB0_3 Depth=1
	.loc	1 0 20 is_stmt 0                ; tvd_aot.py:0:20
	s_or_b64 exec, exec, s[14:15]
	.loc	1 51 22 is_stmt 1               ; tvd_aot.py:51:22
	v_add_u32_e32 v15, 0x600, v0
	.loc	1 52 25                         ; tvd_aot.py:52:25
	v_cmp_gt_i32_e64 s[24:25], s26, v15
	.loc	1 54 20                         ; tvd_aot.py:54:20
	s_and_saveexec_b64 s[14:15], s[24:25]
	s_cbranch_execz .LBB0_11
; %bb.10:                               ;   in Loop: Header=BB0_3 Depth=1
	v_add_co_u32_e32 v16, vcc, 0x1000, v2
	s_nop 1
	v_addc_co_u32_e32 v17, vcc, 0, v3, vcc
	global_load_dword v13, v[16:17], off offset:2048
.LBB0_11:                               ;   in Loop: Header=BB0_3 Depth=1
	.loc	1 0 20 is_stmt 0                ; tvd_aot.py:0:20
	s_or_b64 exec, exec, s[14:15]
	.loc	1 51 22 is_stmt 1               ; tvd_aot.py:51:22
	v_add_u32_e32 v15, 0x800, v0
	.loc	1 52 25                         ; tvd_aot.py:52:25
	v_cmp_gt_i32_e64 s[14:15], s26, v15
	.loc	1 54 20                         ; tvd_aot.py:54:20
	v_mov_b32_e32 v15, 0
	v_mov_b32_e32 v16, v15
	s_and_saveexec_b64 s[18:19], s[14:15]
	s_cbranch_execz .LBB0_13
; %bb.12:                               ;   in Loop: Header=BB0_3 Depth=1
	v_add_co_u32_e32 v16, vcc, 0x2000, v2
	s_nop 1
	v_addc_co_u32_e32 v17, vcc, 0, v3, vcc
	global_load_dword v16, v[16:17], off
.LBB0_13:                               ;   in Loop: Header=BB0_3 Depth=1
	.loc	1 0 20 is_stmt 0                ; tvd_aot.py:0:20
	s_or_b64 exec, exec, s[18:19]
	.loc	1 51 22 is_stmt 1               ; tvd_aot.py:51:22
	v_add_u32_e32 v17, 0xa00, v0
	.loc	1 52 25                         ; tvd_aot.py:52:25
	v_cmp_gt_i32_e64 s[22:23], s26, v17
	.loc	1 54 20                         ; tvd_aot.py:54:20
	s_and_saveexec_b64 s[18:19], s[22:23]
	s_cbranch_execz .LBB0_15
; %bb.14:                               ;   in Loop: Header=BB0_3 Depth=1
	v_add_co_u32_e32 v18, vcc, 0x2000, v2
	s_nop 1
	v_addc_co_u32_e32 v19, vcc, 0, v3, vcc
	global_load_dword v15, v[18:19], off offset:2048
.LBB0_15:                               ;   in Loop: Header=BB0_3 Depth=1
	.loc	1 0 20 is_stmt 0                ; tvd_aot.py:0:20
	s_or_b64 exec, exec, s[18:19]
	.loc	1 51 22 is_stmt 1               ; tvd_aot.py:51:22
	v_add_u32_e32 v17, 0xc00, v0
	.loc	1 52 25                         ; tvd_aot.py:52:25
	v_cmp_gt_i32_e64 s[18:19], s26, v17
	.loc	1 54 20                         ; tvd_aot.py:54:20
	v_mov_b32_e32 v17, 0
	v_mov_b32_e32 v18, v17
	s_and_saveexec_b64 s[20:21], s[18:19]
	s_cbranch_execz .LBB0_17
; %bb.16:                               ;   in Loop: Header=BB0_3 Depth=1
	v_add_co_u32_e32 v18, vcc, 0x3000, v2
	s_nop 1
	v_addc_co_u32_e32 v19, vcc, 0, v3, vcc
	global_load_dword v18, v[18:19], off
.LBB0_17:                               ;   in Loop: Header=BB0_3 Depth=1
	.loc	1 0 20 is_stmt 0                ; tvd_aot.py:0:20
	s_or_b64 exec, exec, s[20:21]
	.loc	1 52 25 is_stmt 1               ; tvd_aot.py:52:25
	v_add_u32_e32 v19, 0xe00, v0
	v_cmp_gt_i32_e64 s[20:21], s26, v19
	.loc	1 54 20                         ; tvd_aot.py:54:20
	s_and_saveexec_b64 s[38:39], s[20:21]
	s_cbranch_execz .LBB0_19
; %bb.18:                               ;   in Loop: Header=BB0_3 Depth=1
	v_add_co_u32_e32 v2, vcc, 0x3000, v2
	s_nop 1
	v_addc_co_u32_e32 v3, vcc, 0, v3, vcc
	global_load_dword v17, v[2:3], off offset:2048
.LBB0_19:                               ;   in Loop: Header=BB0_3 Depth=1
	.loc	1 0 20 is_stmt 0                ; tvd_aot.py:0:20
	s_or_b64 exec, exec, s[38:39]
	.loc	1 55 20 is_stmt 1               ; tvd_aot.py:55:20
	v_mov_b32_e32 v19, 0
	.loc	1 55 28 is_stmt 0               ; tvd_aot.py:55:28
	v_lshl_add_u64 v[2:3], v[0:1], 2, s[30:31]
	v_mov_b32_e32 v20, v19
	.loc	1 55 20                         ; tvd_aot.py:55:20
	s_and_saveexec_b64 s[38:39], s[4:5]
	s_cbranch_execz .LBB0_21
; %bb.20:                               ;   in Loop: Header=BB0_3 Depth=1
	global_load_dword v20, v[2:3], off
.LBB0_21:                               ;   in Loop: Header=BB0_3 Depth=1
	.loc	1 0 20                          ; tvd_aot.py:0:20
	s_or_b64 exec, exec, s[38:39]
	.loc	1 55 20                         ; tvd_aot.py:55:20
	s_and_saveexec_b64 s[38:39], s[6:7]
	s_cbranch_execz .LBB0_23
; %bb.22:                               ;   in Loop: Header=BB0_3 Depth=1
	global_load_dword v19, v[2:3], off offset:2048
.LBB0_23:                               ;   in Loop: Header=BB0_3 Depth=1
	.loc	1 0 20                          ; tvd_aot.py:0:20
	s_or_b64 exec, exec, s[38:39]
	.loc	1 55 20                         ; tvd_aot.py:55:20
	v_mov_b32_e32 v21, 0
	v_mov_b32_e32 v22, v21
	s_and_saveexec_b64 s[38:39], s[8:9]
	s_cbranch_execz .LBB0_25
; %bb.24:                               ;   in Loop: Header=BB0_3 Depth=1
	v_add_co_u32_e32 v22, vcc, 0x1000, v2
	s_nop 1
	v_addc_co_u32_e32 v23, vcc, 0, v3, vcc
	global_load_dword v22, v[22:23], off
.LBB0_25:                               ;   in Loop: Header=BB0_3 Depth=1
	.loc	1 0 20                          ; tvd_aot.py:0:20
	s_or_b64 exec, exec, s[38:39]
	.loc	1 55 20                         ; tvd_aot.py:55:20
	s_and_saveexec_b64 s[38:39], s[24:25]
	s_cbranch_execz .LBB0_27
; %bb.26:                               ;   in Loop: Header=BB0_3 Depth=1
	v_add_co_u32_e32 v24, vcc, 0x1000, v2
	s_nop 1
	v_addc_co_u32_e32 v25, vcc, 0, v3, vcc
	global_load_dword v21, v[24:25], off offset:2048
.LBB0_27:                               ;   in Loop: Header=BB0_3 Depth=1
	.loc	1 0 20                          ; tvd_aot.py:0:20
	s_or_b64 exec, exec, s[38:39]
	.loc	1 55 20                         ; tvd_aot.py:55:20
	v_mov_b32_e32 v23, 0
	v_mov_b32_e32 v24, v23
	s_and_saveexec_b64 s[38:39], s[14:15]
	s_cbranch_execz .LBB0_29
; %bb.28:                               ;   in Loop: Header=BB0_3 Depth=1
	v_add_co_u32_e32 v24, vcc, 0x2000, v2
	s_nop 1
	v_addc_co_u32_e32 v25, vcc, 0, v3, vcc
	global_load_dword v24, v[24:25], off
.LBB0_29:                               ;   in Loop: Header=BB0_3 Depth=1
	.loc	1 0 20                          ; tvd_aot.py:0:20
	s_or_b64 exec, exec, s[38:39]
	.loc	1 55 20                         ; tvd_aot.py:55:20
	s_and_saveexec_b64 s[38:39], s[22:23]
	s_cbranch_execz .LBB0_31
; %bb.30:                               ;   in Loop: Header=BB0_3 Depth=1
	v_add_co_u32_e32 v26, vcc, 0x2000, v2
	s_nop 1
	v_addc_co_u32_e32 v27, vcc, 0, v3, vcc
	global_load_dword v23, v[26:27], off offset:2048
.LBB0_31:                               ;   in Loop: Header=BB0_3 Depth=1
	.loc	1 0 20                          ; tvd_aot.py:0:20
	s_or_b64 exec, exec, s[38:39]
	.loc	1 55 20                         ; tvd_aot.py:55:20
	v_mov_b32_e32 v25, 0
	v_mov_b32_e32 v26, v25
	s_and_saveexec_b64 s[38:39], s[18:19]
	s_cbranch_execnz .LBB0_48
; %bb.32:                               ;   in Loop: Header=BB0_3 Depth=1
	.loc	1 0 20                          ; tvd_aot.py:0:20
	s_or_b64 exec, exec, s[38:39]
	.loc	1 55 20                         ; tvd_aot.py:55:20
	s_and_saveexec_b64 s[38:39], s[20:21]
	s_cbranch_execnz .LBB0_49
.LBB0_33:                               ;   in Loop: Header=BB0_3 Depth=1
	.loc	1 0 20                          ; tvd_aot.py:0:20
	s_or_b64 exec, exec, s[38:39]
	.loc	1 63 29 is_stmt 1               ; tvd_aot.py:63:29
	v_lshl_add_u64 v[0:1], v[0:1], 2, s[34:35]
	.loc	1 63 38 is_stmt 0               ; tvd_aot.py:63:38
	s_and_saveexec_b64 s[38:39], s[4:5]
	s_cbranch_execnz .LBB0_50
.LBB0_34:                               ;   in Loop: Header=BB0_3 Depth=1
	.loc	1 0 38                          ; tvd_aot.py:0:38
	s_or_b64 exec, exec, s[38:39]
	.loc	1 63 38                         ; tvd_aot.py:63:38
	s_and_saveexec_b64 s[4:5], s[6:7]
	s_cbranch_execnz .LBB0_51
.LBB0_35:                               ;   in Loop: Header=BB0_3 Depth=1
	.loc	1 0 38                          ; tvd_aot.py:0:38
	s_or_b64 exec, exec, s[4:5]
	.loc	1 63 38                         ; tvd_aot.py:63:38
	s_and_saveexec_b64 s[4:5], s[8:9]
	s_cbranch_execnz .LBB0_52
.LBB0_36:                               ;   in Loop: Header=BB0_3 Depth=1
	.loc	1 0 38                          ; tvd_aot.py:0:38
	s_or_b64 exec, exec, s[4:5]
	.loc	1 63 38                         ; tvd_aot.py:63:38
	s_and_saveexec_b64 s[4:5], s[24:25]
	s_cbranch_execnz .LBB0_53
.LBB0_37:                               ;   in Loop: Header=BB0_3 Depth=1
	.loc	1 0 38                          ; tvd_aot.py:0:38
	s_or_b64 exec, exec, s[4:5]
	.loc	1 63 38                         ; tvd_aot.py:63:38
	s_and_saveexec_b64 s[4:5], s[14:15]
	s_cbranch_execnz .LBB0_54
.LBB0_38:                               ;   in Loop: Header=BB0_3 Depth=1
	.loc	1 0 38                          ; tvd_aot.py:0:38
	s_or_b64 exec, exec, s[4:5]
	.loc	1 63 38                         ; tvd_aot.py:63:38
	s_and_saveexec_b64 s[4:5], s[22:23]
	s_cbranch_execnz .LBB0_55
.LBB0_39:                               ;   in Loop: Header=BB0_3 Depth=1
	.loc	1 0 38                          ; tvd_aot.py:0:38
	s_or_b64 exec, exec, s[4:5]
	.loc	1 63 38                         ; tvd_aot.py:63:38
	s_and_saveexec_b64 s[4:5], s[18:19]
	s_cbranch_execnz .LBB0_56
.LBB0_40:                               ;   in Loop: Header=BB0_3 Depth=1
	.loc	1 0 38                          ; tvd_aot.py:0:38
	s_or_b64 exec, exec, s[4:5]
	.loc	1 63 38                         ; tvd_aot.py:63:38
	s_and_saveexec_b64 s[4:5], s[20:21]
	s_cbranch_execz .LBB0_42
.LBB0_41:                               ;   in Loop: Header=BB0_3 Depth=1
	.loc	1 61 32 is_stmt 1               ; tvd_aot.py:61:32
	s_waitcnt vmcnt(0)
	v_cmp_gt_f32_e32 vcc, v17, v25
	.loc	1 61 48 is_stmt 0               ; tvd_aot.py:61:48
	s_nop 1
	v_cndmask_b32_e32 v2, v7, v6, vcc
	.loc	1 63 38 is_stmt 1               ; tvd_aot.py:63:38
	v_add_co_u32_e32 v0, vcc, 0x3000, v0
	s_nop 1
	v_addc_co_u32_e32 v1, vcc, 0, v1, vcc
	global_store_dword v[0:1], v2, off offset:2048
.LBB0_42:                               ;   in Loop: Header=BB0_3 Depth=1
	.loc	1 0 38 is_stmt 0                ; tvd_aot.py:0:38
	s_or_b64 exec, exec, s[4:5]
	.loc	1 58 35 is_stmt 1               ; tvd_aot.py:58:35
	s_waitcnt vmcnt(0)
	v_sub_f32_e32 v1, v11, v19
	v_sub_f32_e32 v0, v12, v20
	.loc	1 58 24 is_stmt 0               ; tvd_aot.py:58:24
	v_mul_f32_e64 v1, |v1|, 0.5
	.loc	1 58 35                         ; tvd_aot.py:58:35
	v_sub_f32_e32 v2, v14, v22
.Ltmp4:
	.loc	2 263 15 is_stmt 1              ; standard.py:263:15 @[ standard.py:293:36 @[ tvd_aot.py:68:31 ] ]
	v_fma_f32 v0, |v0|, 0.5, v1
.Ltmp5:
	.loc	1 58 35                         ; tvd_aot.py:58:35
	v_sub_f32_e32 v3, v13, v21
.Ltmp6:
	.loc	2 263 15                        ; standard.py:263:15 @[ standard.py:293:36 @[ tvd_aot.py:68:31 ] ]
	v_fma_f32 v0, |v2|, 0.5, v0
.Ltmp7:
	.loc	1 58 35                         ; tvd_aot.py:58:35
	v_sub_f32_e32 v11, v16, v24
.Ltmp8:
	.loc	2 263 15                        ; standard.py:263:15 @[ standard.py:293:36 @[ tvd_aot.py:68:31 ] ]
	v_fma_f32 v0, |v3|, 0.5, v0
.Ltmp9:
	.loc	1 58 35                         ; tvd_aot.py:58:35
	v_sub_f32_e32 v12, v15, v23
.Ltmp10:
	.loc	2 263 15                        ; standard.py:263:15 @[ standard.py:293:36 @[ tvd_aot.py:68:31 ] ]
	v_fma_f32 v0, |v11|, 0.5, v0
.Ltmp11:
	.loc	1 58 35                         ; tvd_aot.py:58:35
	v_sub_f32_e32 v13, v18, v26
.Ltmp12:
	.loc	2 263 15                        ; standard.py:263:15 @[ standard.py:293:36 @[ tvd_aot.py:68:31 ] ]
	v_fma_f32 v0, |v12|, 0.5, v0
.Ltmp13:
	.loc	1 58 35                         ; tvd_aot.py:58:35
	v_sub_f32_e32 v14, v17, v25
.Ltmp14:
	.loc	2 263 15                        ; standard.py:263:15 @[ standard.py:293:36 @[ tvd_aot.py:68:31 ] ]
	v_fma_f32 v0, |v13|, 0.5, v0
	v_fma_f32 v0, |v14|, 0.5, v0
.Ltmp15:
	.loc	2 293 36                        ; standard.py:293:36 @[ tvd_aot.py:68:31 ]
	s_waitcnt lgkmcnt(0)
	s_barrier
.Ltmp16:
	.loc	2 263 15                        ; standard.py:263:15 @[ standard.py:293:36 @[ tvd_aot.py:68:31 ] ]
	v_add_f32_dpp v0, v0, v0 row_shr:8 row_mask:0xf bank_mask:0xf bound_ctrl:1
	s_nop 1
	v_add_f32_dpp v0, v0, v0 row_shr:4 row_mask:0xf bank_mask:0xf bound_ctrl:1
	s_nop 1
	;; [unrolled: 2-line block ×3, first 2 shown]
	v_add_f32_dpp v0, v0, v0 row_shr:1 row_mask:0xf bank_mask:0xf bound_ctrl:1
.Ltmp17:
	.loc	2 293 36                        ; standard.py:293:36 @[ tvd_aot.py:68:31 ]
	v_mov_b32_e32 v1, v0
	s_nop 1
	v_mov_b32_dpp v1, v1 row_bcast:15 row_mask:0xa bank_mask:0xf bound_ctrl:1
.Ltmp18:
	.loc	2 263 15                        ; standard.py:263:15 @[ standard.py:293:36 @[ tvd_aot.py:68:31 ] ]
	v_add_f32_e32 v0, v0, v1
	s_nop 1
	v_add_f32_dpp v0, v0, v0 row_bcast:31 row_mask:0xf bank_mask:0xf bound_ctrl:1
.Ltmp19:
	.loc	2 293 36                        ; standard.py:293:36 @[ tvd_aot.py:68:31 ]
	s_nop 0
	v_readlane_b32 s6, v0, 63
	s_and_saveexec_b64 s[4:5], s[0:1]
; %bb.43:                               ;   in Loop: Header=BB0_3 Depth=1
	v_mov_b32_e32 v0, s33
	v_mov_b32_e32 v1, s6
	ds_write_b32 v0, v1
.Ltmp20:
; %bb.44:                               ;   in Loop: Header=BB0_3 Depth=1
	.loc	2 0 36 is_stmt 0                ; standard.py:0:36
	s_or_b64 exec, exec, s[4:5]
	.loc	1 68 31 is_stmt 1               ; tvd_aot.py:68:31
	v_mov_b32_e32 v0, 0
.Ltmp21:
	.loc	2 293 36                        ; standard.py:293:36 @[ tvd_aot.py:68:31 ]
	s_waitcnt lgkmcnt(0)
	s_barrier
	s_and_saveexec_b64 s[4:5], s[2:3]
; %bb.45:                               ;   in Loop: Header=BB0_3 Depth=1
	ds_read_b32 v0, v8
; %bb.46:                               ;   in Loop: Header=BB0_3 Depth=1
	.loc	2 0 36 is_stmt 0                ; standard.py:0:36
	s_or_b64 exec, exec, s[4:5]
	.loc	2 293 36                        ; standard.py:293:36 @[ tvd_aot.py:68:31 ]
	s_waitcnt lgkmcnt(0)
	v_mov_b32_e32 v1, v0
	s_nop 1
	v_mov_b32_dpp v1, v1 row_shr:4 row_mask:0xf bank_mask:0xa
	s_nop 1
	v_mov_b32_dpp v1, v0 row_shl:4 row_mask:0xf bank_mask:0x5
.Ltmp22:
	.loc	2 263 15 is_stmt 1              ; standard.py:263:15 @[ standard.py:293:36 @[ tvd_aot.py:68:31 ] ]
	v_add_f32_e32 v0, v0, v1
.Ltmp23:
	.loc	2 293 36                        ; standard.py:293:36 @[ tvd_aot.py:68:31 ]
	v_mov_b32_e32 v1, v0
	s_nop 1
	v_mov_b32_dpp v1, v1 quad_perm:[2,3,0,1] row_mask:0xf bank_mask:0xf
.Ltmp24:
	.loc	2 263 15                        ; standard.py:263:15 @[ standard.py:293:36 @[ tvd_aot.py:68:31 ] ]
	v_add_f32_e32 v0, v0, v1
.Ltmp25:
	.loc	2 293 36                        ; standard.py:293:36 @[ tvd_aot.py:68:31 ]
	v_mov_b32_e32 v1, v0
	s_nop 1
	v_mov_b32_dpp v1, v1 quad_perm:[1,0,3,2] row_mask:0xf bank_mask:0xf
	s_and_saveexec_b64 s[4:5], s[36:37]
	s_cbranch_execz .LBB0_2
; %bb.47:                               ;   in Loop: Header=BB0_3 Depth=1
	.loc	2 0 36 is_stmt 0                ; standard.py:0:36
	v_add_f32_e32 v0, v0, v1
	.loc	2 293 36                        ; standard.py:293:36 @[ tvd_aot.py:68:31 ]
	ds_write_b32 v8, v0
	s_branch .LBB0_2
.Ltmp26:
.LBB0_48:                               ;   in Loop: Header=BB0_3 Depth=1
	.loc	1 55 20 is_stmt 1               ; tvd_aot.py:55:20
	v_add_co_u32_e32 v26, vcc, 0x3000, v2
	s_nop 1
	v_addc_co_u32_e32 v27, vcc, 0, v3, vcc
	global_load_dword v26, v[26:27], off
	s_or_b64 exec, exec, s[38:39]
	s_and_saveexec_b64 s[38:39], s[20:21]
	s_cbranch_execz .LBB0_33
.LBB0_49:                               ;   in Loop: Header=BB0_3 Depth=1
	v_add_co_u32_e32 v2, vcc, 0x3000, v2
	s_nop 1
	v_addc_co_u32_e32 v3, vcc, 0, v3, vcc
	global_load_dword v25, v[2:3], off offset:2048
	s_or_b64 exec, exec, s[38:39]
	.loc	1 63 29                         ; tvd_aot.py:63:29
	v_lshl_add_u64 v[0:1], v[0:1], 2, s[34:35]
	.loc	1 63 38 is_stmt 0               ; tvd_aot.py:63:38
	s_and_saveexec_b64 s[38:39], s[4:5]
	s_cbranch_execz .LBB0_34
.LBB0_50:                               ;   in Loop: Header=BB0_3 Depth=1
	.loc	1 0 38                          ; tvd_aot.py:0:38
	s_waitcnt vmcnt(0)
	v_cmp_gt_f32_e32 vcc, v12, v20
	s_nop 1
	v_cndmask_b32_e32 v2, v7, v6, vcc
	.loc	1 63 38                         ; tvd_aot.py:63:38
	global_store_dword v[0:1], v2, off
	s_or_b64 exec, exec, s[38:39]
	s_and_saveexec_b64 s[4:5], s[6:7]
	s_cbranch_execz .LBB0_35
.LBB0_51:                               ;   in Loop: Header=BB0_3 Depth=1
	.loc	1 61 32 is_stmt 1               ; tvd_aot.py:61:32
	s_waitcnt vmcnt(0)
	v_cmp_gt_f32_e32 vcc, v11, v19
	.loc	1 61 48 is_stmt 0               ; tvd_aot.py:61:48
	s_nop 1
	v_cndmask_b32_e32 v2, v7, v6, vcc
	.loc	1 63 38 is_stmt 1               ; tvd_aot.py:63:38
	global_store_dword v[0:1], v2, off offset:2048
	s_or_b64 exec, exec, s[4:5]
	s_and_saveexec_b64 s[4:5], s[8:9]
	s_cbranch_execz .LBB0_36
.LBB0_52:                               ;   in Loop: Header=BB0_3 Depth=1
	.loc	1 61 32                         ; tvd_aot.py:61:32
	s_waitcnt vmcnt(0)
	v_cmp_gt_f32_e32 vcc, v14, v22
	.loc	1 61 48 is_stmt 0               ; tvd_aot.py:61:48
	s_nop 1
	v_cndmask_b32_e32 v27, v7, v6, vcc
	.loc	1 63 38 is_stmt 1               ; tvd_aot.py:63:38
	v_add_co_u32_e32 v2, vcc, 0x1000, v0
	s_nop 1
	v_addc_co_u32_e32 v3, vcc, 0, v1, vcc
	global_store_dword v[2:3], v27, off
	s_or_b64 exec, exec, s[4:5]
	s_and_saveexec_b64 s[4:5], s[24:25]
	s_cbranch_execz .LBB0_37
.LBB0_53:                               ;   in Loop: Header=BB0_3 Depth=1
	.loc	1 61 32                         ; tvd_aot.py:61:32
	s_waitcnt vmcnt(0)
	v_cmp_gt_f32_e32 vcc, v13, v21
	.loc	1 61 48 is_stmt 0               ; tvd_aot.py:61:48
	s_nop 1
	v_cndmask_b32_e32 v27, v7, v6, vcc
	.loc	1 63 38 is_stmt 1               ; tvd_aot.py:63:38
	v_add_co_u32_e32 v2, vcc, 0x1000, v0
	s_nop 1
	v_addc_co_u32_e32 v3, vcc, 0, v1, vcc
	global_store_dword v[2:3], v27, off offset:2048
	s_or_b64 exec, exec, s[4:5]
	s_and_saveexec_b64 s[4:5], s[14:15]
	s_cbranch_execz .LBB0_38
.LBB0_54:                               ;   in Loop: Header=BB0_3 Depth=1
	.loc	1 61 32                         ; tvd_aot.py:61:32
	s_waitcnt vmcnt(0)
	v_cmp_gt_f32_e32 vcc, v16, v24
	.loc	1 61 48 is_stmt 0               ; tvd_aot.py:61:48
	s_nop 1
	v_cndmask_b32_e32 v27, v7, v6, vcc
	.loc	1 63 38 is_stmt 1               ; tvd_aot.py:63:38
	v_add_co_u32_e32 v2, vcc, 0x2000, v0
	s_nop 1
	v_addc_co_u32_e32 v3, vcc, 0, v1, vcc
	global_store_dword v[2:3], v27, off
	s_or_b64 exec, exec, s[4:5]
	s_and_saveexec_b64 s[4:5], s[22:23]
	s_cbranch_execz .LBB0_39
.LBB0_55:                               ;   in Loop: Header=BB0_3 Depth=1
	.loc	1 61 32                         ; tvd_aot.py:61:32
	s_waitcnt vmcnt(0)
	v_cmp_gt_f32_e32 vcc, v15, v23
	.loc	1 61 48 is_stmt 0               ; tvd_aot.py:61:48
	s_nop 1
	v_cndmask_b32_e32 v27, v7, v6, vcc
	.loc	1 63 38 is_stmt 1               ; tvd_aot.py:63:38
	v_add_co_u32_e32 v2, vcc, 0x2000, v0
	s_nop 1
	v_addc_co_u32_e32 v3, vcc, 0, v1, vcc
	global_store_dword v[2:3], v27, off offset:2048
	s_or_b64 exec, exec, s[4:5]
	s_and_saveexec_b64 s[4:5], s[18:19]
	s_cbranch_execz .LBB0_40
.LBB0_56:                               ;   in Loop: Header=BB0_3 Depth=1
	.loc	1 61 32                         ; tvd_aot.py:61:32
	s_waitcnt vmcnt(0)
	v_cmp_gt_f32_e32 vcc, v18, v26
	.loc	1 61 48 is_stmt 0               ; tvd_aot.py:61:48
	s_nop 1
	v_cndmask_b32_e32 v27, v7, v6, vcc
	.loc	1 63 38 is_stmt 1               ; tvd_aot.py:63:38
	v_add_co_u32_e32 v2, vcc, 0x3000, v0
	s_nop 1
	v_addc_co_u32_e32 v3, vcc, 0, v1, vcc
	global_store_dword v[2:3], v27, off
	s_or_b64 exec, exec, s[4:5]
	s_and_saveexec_b64 s[4:5], s[20:21]
	s_cbranch_execnz .LBB0_41
	s_branch .LBB0_42
.LBB0_57:
	.loc	1 0 38 is_stmt 0                ; tvd_aot.py:0:38
	v_mov_b32_e32 v5, 0
.LBB0_58:                               ; %._crit_edge
	.loc	1 72 27 is_stmt 1               ; tvd_aot.py:72:27
	s_lshr_b32 s0, s13, 6
	v_or_b32_e32 v0, s0, v4
	v_cmp_eq_u32_e32 vcc, 0, v0
	s_and_saveexec_b64 s[0:1], vcc
	s_cbranch_execz .LBB0_60
; %bb.59:
	.loc	1 32 22                         ; tvd_aot.py:32:22
	s_mul_hi_i32 s1, s12, s16
	s_mul_i32 s0, s12, s16
	.loc	1 32 16 is_stmt 0               ; tvd_aot.py:32:16
	s_lshl_b64 s[0:1], s[0:1], 2
	s_add_u32 s0, s10, s0
	s_addc_u32 s1, s11, s1
	v_mov_b32_e32 v0, 0
	v_mul_f32_e32 v1, s27, v5
	.loc	1 72 27 is_stmt 1               ; tvd_aot.py:72:27
	global_store_dword v0, v1, s[0:1]
.LBB0_60:
	.loc	1 70 4                          ; tvd_aot.py:70:4
	s_endpgm
.Ltmp27:
	.section	.rodata,"a",@progbits
	.p2align	6, 0x0
	.amdhsa_kernel _tv_distance_kernel
		.amdhsa_group_segment_fixed_size 0
		.amdhsa_private_segment_fixed_size 0
		.amdhsa_kernarg_size 96
		.amdhsa_user_sgpr_count 16
		.amdhsa_user_sgpr_dispatch_ptr 0
		.amdhsa_user_sgpr_queue_ptr 0
		.amdhsa_user_sgpr_kernarg_segment_ptr 1
		.amdhsa_user_sgpr_dispatch_id 0
		.amdhsa_user_sgpr_kernarg_preload_length 14
		.amdhsa_user_sgpr_kernarg_preload_offset 0
		.amdhsa_user_sgpr_private_segment_size 0
		.amdhsa_uses_dynamic_stack 0
		.amdhsa_enable_private_segment 0
		.amdhsa_system_sgpr_workgroup_id_x 1
		.amdhsa_system_sgpr_workgroup_id_y 0
		.amdhsa_system_sgpr_workgroup_id_z 0
		.amdhsa_system_sgpr_workgroup_info 0
		.amdhsa_system_vgpr_workitem_id 0
		.amdhsa_next_free_vgpr 28
		.amdhsa_next_free_sgpr 40
		.amdhsa_accum_offset 28
		.amdhsa_reserve_vcc 1
		.amdhsa_reserve_xnack_mask 1
		.amdhsa_float_round_mode_32 0
		.amdhsa_float_round_mode_16_64 0
		.amdhsa_float_denorm_mode_32 3
		.amdhsa_float_denorm_mode_16_64 3
		.amdhsa_dx10_clamp 1
		.amdhsa_ieee_mode 1
		.amdhsa_fp16_overflow 0
		.amdhsa_tg_split 0
		.amdhsa_exception_fp_ieee_invalid_op 0
		.amdhsa_exception_fp_denorm_src 0
		.amdhsa_exception_fp_ieee_div_zero 0
		.amdhsa_exception_fp_ieee_overflow 0
		.amdhsa_exception_fp_ieee_underflow 0
		.amdhsa_exception_fp_ieee_inexact 0
		.amdhsa_exception_int_div_zero 0
	.end_amdhsa_kernel
	.text
.Lfunc_end0:
	.size	_tv_distance_kernel, .Lfunc_end0-_tv_distance_kernel
	.cfi_endproc
                                        ; -- End function
	.set _tv_distance_kernel.num_vgpr, 28
	.set _tv_distance_kernel.num_agpr, 0
	.set _tv_distance_kernel.numbered_sgpr, 40
	.set _tv_distance_kernel.num_named_barrier, 0
	.set _tv_distance_kernel.private_seg_size, 0
	.set _tv_distance_kernel.uses_vcc, 1
	.set _tv_distance_kernel.uses_flat_scratch, 0
	.set _tv_distance_kernel.has_dyn_sized_stack, 0
	.set _tv_distance_kernel.has_recursion, 0
	.set _tv_distance_kernel.has_indirect_call, 0
	.section	.AMDGPU.csdata,"",@progbits
; Kernel info:
; codeLenInByte = 2128
; TotalNumSgprs: 46
; NumVgprs: 28
; NumAgprs: 0
; TotalNumVgprs: 28
; ScratchSize: 0
; MemoryBound: 0
; FloatMode: 240
; IeeeMode: 1
; LDSByteSize: 0 bytes/workgroup (compile time only)
; SGPRBlocks: 5
; VGPRBlocks: 3
; NumSGPRsForWavesPerEU: 46
; NumVGPRsForWavesPerEU: 28
; AccumOffset: 28
; Occupancy: 8
; WaveLimiterHint : 0
; COMPUTE_PGM_RSRC2:SCRATCH_EN: 0
; COMPUTE_PGM_RSRC2:USER_SGPR: 16
; COMPUTE_PGM_RSRC2:TRAP_HANDLER: 0
; COMPUTE_PGM_RSRC2:TGID_X_EN: 1
; COMPUTE_PGM_RSRC2:TGID_Y_EN: 0
; COMPUTE_PGM_RSRC2:TGID_Z_EN: 0
; COMPUTE_PGM_RSRC2:TIDIG_COMP_CNT: 0
; COMPUTE_PGM_RSRC3_GFX90A:ACCUM_OFFSET: 6
; COMPUTE_PGM_RSRC3_GFX90A:TG_SPLIT: 0
	.text
	.p2alignl 6, 3212836864
	.fill 256, 4, 3212836864
	.section	.AMDGPU.gpr_maximums,"",@progbits
	.set amdgpu.max_num_vgpr, 0
	.set amdgpu.max_num_agpr, 0
	.set amdgpu.max_num_sgpr, 0
	.set amdgpu.max_num_named_barrier, 0
	.text
	.section	.debug_abbrev,"",@progbits
	.byte	1                               ; Abbreviation Code
	.byte	17                              ; DW_TAG_compile_unit
	.byte	1                               ; DW_CHILDREN_yes
	.byte	37                              ; DW_AT_producer
	.byte	14                              ; DW_FORM_strp
	.byte	19                              ; DW_AT_language
	.byte	5                               ; DW_FORM_data2
	.byte	3                               ; DW_AT_name
	.byte	14                              ; DW_FORM_strp
	.byte	16                              ; DW_AT_stmt_list
	.byte	23                              ; DW_FORM_sec_offset
	.byte	27                              ; DW_AT_comp_dir
	.byte	14                              ; DW_FORM_strp
	.byte	17                              ; DW_AT_low_pc
	.byte	1                               ; DW_FORM_addr
	.byte	18                              ; DW_AT_high_pc
	.byte	6                               ; DW_FORM_data4
	.byte	0                               ; EOM(1)
	.byte	0                               ; EOM(2)
	.byte	2                               ; Abbreviation Code
	.byte	46                              ; DW_TAG_subprogram
	.byte	0                               ; DW_CHILDREN_no
	.byte	3                               ; DW_AT_name
	.byte	14                              ; DW_FORM_strp
	.byte	32                              ; DW_AT_inline
	.byte	11                              ; DW_FORM_data1
	.byte	0                               ; EOM(1)
	.byte	0                               ; EOM(2)
	.byte	3                               ; Abbreviation Code
	.byte	46                              ; DW_TAG_subprogram
	.byte	1                               ; DW_CHILDREN_yes
	.byte	17                              ; DW_AT_low_pc
	.byte	1                               ; DW_FORM_addr
	.byte	18                              ; DW_AT_high_pc
	.byte	6                               ; DW_FORM_data4
	.byte	49                              ; DW_AT_abstract_origin
	.byte	19                              ; DW_FORM_ref4
	.byte	0                               ; EOM(1)
	.byte	0                               ; EOM(2)
	.byte	4                               ; Abbreviation Code
	.byte	29                              ; DW_TAG_inlined_subroutine
	.byte	1                               ; DW_CHILDREN_yes
	.byte	49                              ; DW_AT_abstract_origin
	.byte	19                              ; DW_FORM_ref4
	.byte	85                              ; DW_AT_ranges
	.byte	23                              ; DW_FORM_sec_offset
	.byte	88                              ; DW_AT_call_file
	.byte	11                              ; DW_FORM_data1
	.byte	89                              ; DW_AT_call_line
	.byte	11                              ; DW_FORM_data1
	.byte	87                              ; DW_AT_call_column
	.byte	11                              ; DW_FORM_data1
	.byte	0                               ; EOM(1)
	.byte	0                               ; EOM(2)
	.byte	5                               ; Abbreviation Code
	.byte	29                              ; DW_TAG_inlined_subroutine
	.byte	0                               ; DW_CHILDREN_no
	.byte	49                              ; DW_AT_abstract_origin
	.byte	19                              ; DW_FORM_ref4
	.byte	85                              ; DW_AT_ranges
	.byte	23                              ; DW_FORM_sec_offset
	.byte	88                              ; DW_AT_call_file
	.byte	11                              ; DW_FORM_data1
	.byte	89                              ; DW_AT_call_line
	.byte	5                               ; DW_FORM_data2
	.byte	87                              ; DW_AT_call_column
	.byte	11                              ; DW_FORM_data1
	.byte	0                               ; EOM(1)
	.byte	0                               ; EOM(2)
	;; [unrolled: 1-line block ×3, first 2 shown]
	.section	.debug_info,"",@progbits
.Lcu_begin0:
	.long	.Ldebug_info_end0-.Ldebug_info_start0 ; Length of Unit
.Ldebug_info_start0:
	.short	4                               ; DWARF version number
	.long	.debug_abbrev                   ; Offset Into Abbrev. Section
	.byte	8                               ; Address Size (in bytes)
	.byte	1                               ; Abbrev [1] 0xb:0x52 DW_TAG_compile_unit
	.long	.Linfo_string0                  ; DW_AT_producer
	.short	2                               ; DW_AT_language
	.long	.Linfo_string1                  ; DW_AT_name
	.long	.Lline_table_start0             ; DW_AT_stmt_list
	.long	.Linfo_string2                  ; DW_AT_comp_dir
	.quad	.Lfunc_begin0                   ; DW_AT_low_pc
	.long	.Lfunc_end0-.Lfunc_begin0       ; DW_AT_high_pc
	.byte	2                               ; Abbrev [2] 0x2a:0x6 DW_TAG_subprogram
	.long	.Linfo_string3                  ; DW_AT_name
	.byte	1                               ; DW_AT_inline
	.byte	3                               ; Abbrev [3] 0x30:0x2c DW_TAG_subprogram
	.quad	.Lfunc_begin0                   ; DW_AT_low_pc
	.long	.Lfunc_end0-.Lfunc_begin0       ; DW_AT_high_pc
	.long	42                              ; DW_AT_abstract_origin
	.byte	4                               ; Abbrev [4] 0x41:0x1a DW_TAG_inlined_subroutine
	.long	42                              ; DW_AT_abstract_origin
	.long	.Ldebug_ranges0                 ; DW_AT_ranges
	.byte	1                               ; DW_AT_call_file
	.byte	68                              ; DW_AT_call_line
	.byte	31                              ; DW_AT_call_column
	.byte	5                               ; Abbrev [5] 0x4d:0xd DW_TAG_inlined_subroutine
	.long	42                              ; DW_AT_abstract_origin
	.long	.Ldebug_ranges1                 ; DW_AT_ranges
	.byte	2                               ; DW_AT_call_file
	.short	293                             ; DW_AT_call_line
	.byte	36                              ; DW_AT_call_column
	.byte	0                               ; End Of Children Mark
	.byte	0                               ; End Of Children Mark
	;; [unrolled: 1-line block ×3, first 2 shown]
.Ldebug_info_end0:
	.section	.debug_ranges,"",@progbits
.Ldebug_ranges0:
	.quad	.Ltmp2-.Lfunc_begin0
	.quad	.Ltmp3-.Lfunc_begin0
	.quad	.Ltmp4-.Lfunc_begin0
	.quad	.Ltmp5-.Lfunc_begin0
	.quad	.Ltmp6-.Lfunc_begin0
	.quad	.Ltmp7-.Lfunc_begin0
	.quad	.Ltmp8-.Lfunc_begin0
	.quad	.Ltmp9-.Lfunc_begin0
	.quad	.Ltmp10-.Lfunc_begin0
	.quad	.Ltmp11-.Lfunc_begin0
	.quad	.Ltmp12-.Lfunc_begin0
	.quad	.Ltmp13-.Lfunc_begin0
	.quad	.Ltmp14-.Lfunc_begin0
	.quad	.Ltmp20-.Lfunc_begin0
	.quad	.Ltmp21-.Lfunc_begin0
	.quad	.Ltmp26-.Lfunc_begin0
	.quad	0
	.quad	0
.Ldebug_ranges1:
	.quad	.Ltmp4-.Lfunc_begin0
	.quad	.Ltmp5-.Lfunc_begin0
	;; [unrolled: 1-line block ×20, first 2 shown]
	.quad	0
	.quad	0
	.section	.debug_str,"MS",@progbits,1
.Linfo_string0:
	.asciz	"triton"                        ; string offset=0
.Linfo_string1:
	.asciz	"tvd_aot.py"                    ; string offset=7
.Linfo_string2:
	.asciz	"/root/src/amdgpu-assembly/repos/linkedin__Liger-Kernel/triton_aot_kernels" ; string offset=18
.Linfo_string3:
	.asciz	"_tv_distance_kernel"           ; string offset=92
	.section	".note.GNU-stack","",@progbits
	.amdgpu_metadata
---
amdhsa.kernels:
  - .agpr_count:     0
    .args:
      - .address_space:  global
        .offset:         0
        .size:           8
        .value_kind:     global_buffer
      - .offset:         8
        .size:           4
        .value_kind:     by_value
      - .address_space:  global
        .offset:         16
        .size:           8
        .value_kind:     global_buffer
      - .offset:         24
        .size:           4
        .value_kind:     by_value
      - .address_space:  global
        .offset:         32
        .size:           8
        .value_kind:     global_buffer
      - .offset:         40
        .size:           4
        .value_kind:     by_value
      - .address_space:  global
        .offset:         48
        .size:           8
        .value_kind:     global_buffer
      - .offset:         56
        .size:           4
        .value_kind:     by_value
      - .address_space:  global
        .offset:         64
        .size:           8
        .value_kind:     global_buffer
      - .offset:         72
        .size:           4
        .value_kind:     by_value
      - .offset:         76
        .size:           4
        .value_kind:     by_value
      - .address_space:  global
        .offset:         80
        .size:           8
        .value_kind:     global_buffer
      - .address_space:  global
        .offset:         88
        .size:           8
        .value_kind:     global_buffer
    .group_segment_fixed_size: 0
    .kernarg_segment_align: 8
    .kernarg_segment_size: 96
    .max_flat_workgroup_size: 512
    .name:           _tv_distance_kernel
    .private_segment_fixed_size: 0
    .sgpr_count:     46
    .sgpr_spill_count: 0
    .symbol:         _tv_distance_kernel.kd
    .uniform_work_group_size: 1
    .uses_dynamic_stack: false
    .vgpr_count:     28
    .vgpr_spill_count: 0
    .wavefront_size: 64
amdhsa.target:   amdgcn-amd-amdhsa--gfx950
amdhsa.version:
  - 1
  - 2
...

	.end_amdgpu_metadata
	.section	.debug_line,"",@progbits
.Lline_table_start0:
